;; amdgpu-corpus repo=ROCm/rocFFT kind=compiled arch=gfx906 opt=O3
	.text
	.amdgcn_target "amdgcn-amd-amdhsa--gfx906"
	.amdhsa_code_object_version 6
	.protected	fft_rtc_back_len1274_factors_2_13_7_7_wgs_182_tpt_182_halfLds_dp_op_CI_CI_unitstride_sbrr_C2R_dirReg ; -- Begin function fft_rtc_back_len1274_factors_2_13_7_7_wgs_182_tpt_182_halfLds_dp_op_CI_CI_unitstride_sbrr_C2R_dirReg
	.globl	fft_rtc_back_len1274_factors_2_13_7_7_wgs_182_tpt_182_halfLds_dp_op_CI_CI_unitstride_sbrr_C2R_dirReg
	.p2align	8
	.type	fft_rtc_back_len1274_factors_2_13_7_7_wgs_182_tpt_182_halfLds_dp_op_CI_CI_unitstride_sbrr_C2R_dirReg,@function
fft_rtc_back_len1274_factors_2_13_7_7_wgs_182_tpt_182_halfLds_dp_op_CI_CI_unitstride_sbrr_C2R_dirReg: ; @fft_rtc_back_len1274_factors_2_13_7_7_wgs_182_tpt_182_halfLds_dp_op_CI_CI_unitstride_sbrr_C2R_dirReg
; %bb.0:
	s_load_dwordx4 s[8:11], s[4:5], 0x58
	s_load_dwordx4 s[12:15], s[4:5], 0x0
	;; [unrolled: 1-line block ×3, first 2 shown]
	v_mul_u32_u24_e32 v1, 0x169, v0
	v_add_u32_sdwa v5, s6, v1 dst_sel:DWORD dst_unused:UNUSED_PAD src0_sel:DWORD src1_sel:WORD_1
	v_mov_b32_e32 v3, 0
	s_waitcnt lgkmcnt(0)
	v_cmp_lt_u64_e64 s[0:1], s[14:15], 2
	v_mov_b32_e32 v1, 0
	v_mov_b32_e32 v6, v3
	s_and_b64 vcc, exec, s[0:1]
	v_mov_b32_e32 v2, 0
	s_cbranch_vccnz .LBB0_8
; %bb.1:
	s_load_dwordx2 s[0:1], s[4:5], 0x10
	s_add_u32 s2, s18, 8
	s_addc_u32 s3, s19, 0
	s_add_u32 s6, s16, 8
	v_mov_b32_e32 v1, 0
	s_addc_u32 s7, s17, 0
	v_mov_b32_e32 v2, 0
	s_waitcnt lgkmcnt(0)
	s_add_u32 s20, s0, 8
	v_mov_b32_e32 v53, v2
	s_addc_u32 s21, s1, 0
	s_mov_b64 s[22:23], 1
	v_mov_b32_e32 v52, v1
.LBB0_2:                                ; =>This Inner Loop Header: Depth=1
	s_load_dwordx2 s[24:25], s[20:21], 0x0
                                        ; implicit-def: $vgpr54_vgpr55
	s_waitcnt lgkmcnt(0)
	v_or_b32_e32 v4, s25, v6
	v_cmp_ne_u64_e32 vcc, 0, v[3:4]
	s_and_saveexec_b64 s[0:1], vcc
	s_xor_b64 s[26:27], exec, s[0:1]
	s_cbranch_execz .LBB0_4
; %bb.3:                                ;   in Loop: Header=BB0_2 Depth=1
	v_cvt_f32_u32_e32 v4, s24
	v_cvt_f32_u32_e32 v7, s25
	s_sub_u32 s0, 0, s24
	s_subb_u32 s1, 0, s25
	v_mac_f32_e32 v4, 0x4f800000, v7
	v_rcp_f32_e32 v4, v4
	v_mul_f32_e32 v4, 0x5f7ffffc, v4
	v_mul_f32_e32 v7, 0x2f800000, v4
	v_trunc_f32_e32 v7, v7
	v_mac_f32_e32 v4, 0xcf800000, v7
	v_cvt_u32_f32_e32 v7, v7
	v_cvt_u32_f32_e32 v4, v4
	v_mul_lo_u32 v8, s0, v7
	v_mul_hi_u32 v9, s0, v4
	v_mul_lo_u32 v11, s1, v4
	v_mul_lo_u32 v10, s0, v4
	v_add_u32_e32 v8, v9, v8
	v_add_u32_e32 v8, v8, v11
	v_mul_hi_u32 v9, v4, v10
	v_mul_lo_u32 v11, v4, v8
	v_mul_hi_u32 v13, v4, v8
	v_mul_hi_u32 v12, v7, v10
	v_mul_lo_u32 v10, v7, v10
	v_mul_hi_u32 v14, v7, v8
	v_add_co_u32_e32 v9, vcc, v9, v11
	v_addc_co_u32_e32 v11, vcc, 0, v13, vcc
	v_mul_lo_u32 v8, v7, v8
	v_add_co_u32_e32 v9, vcc, v9, v10
	v_addc_co_u32_e32 v9, vcc, v11, v12, vcc
	v_addc_co_u32_e32 v10, vcc, 0, v14, vcc
	v_add_co_u32_e32 v8, vcc, v9, v8
	v_addc_co_u32_e32 v9, vcc, 0, v10, vcc
	v_add_co_u32_e32 v4, vcc, v4, v8
	v_addc_co_u32_e32 v7, vcc, v7, v9, vcc
	v_mul_lo_u32 v8, s0, v7
	v_mul_hi_u32 v9, s0, v4
	v_mul_lo_u32 v10, s1, v4
	v_mul_lo_u32 v11, s0, v4
	v_add_u32_e32 v8, v9, v8
	v_add_u32_e32 v8, v8, v10
	v_mul_lo_u32 v12, v4, v8
	v_mul_hi_u32 v13, v4, v11
	v_mul_hi_u32 v14, v4, v8
	v_mul_hi_u32 v10, v7, v11
	v_mul_lo_u32 v11, v7, v11
	v_mul_hi_u32 v9, v7, v8
	v_add_co_u32_e32 v12, vcc, v13, v12
	v_addc_co_u32_e32 v13, vcc, 0, v14, vcc
	v_mul_lo_u32 v8, v7, v8
	v_add_co_u32_e32 v11, vcc, v12, v11
	v_addc_co_u32_e32 v10, vcc, v13, v10, vcc
	v_addc_co_u32_e32 v9, vcc, 0, v9, vcc
	v_add_co_u32_e32 v8, vcc, v10, v8
	v_addc_co_u32_e32 v9, vcc, 0, v9, vcc
	v_add_co_u32_e32 v4, vcc, v4, v8
	v_addc_co_u32_e32 v9, vcc, v7, v9, vcc
	v_mad_u64_u32 v[7:8], s[0:1], v5, v9, 0
	v_mul_hi_u32 v10, v5, v4
	v_add_co_u32_e32 v11, vcc, v10, v7
	v_addc_co_u32_e32 v12, vcc, 0, v8, vcc
	v_mad_u64_u32 v[7:8], s[0:1], v6, v4, 0
	v_mad_u64_u32 v[9:10], s[0:1], v6, v9, 0
	v_add_co_u32_e32 v4, vcc, v11, v7
	v_addc_co_u32_e32 v4, vcc, v12, v8, vcc
	v_addc_co_u32_e32 v7, vcc, 0, v10, vcc
	v_add_co_u32_e32 v4, vcc, v4, v9
	v_addc_co_u32_e32 v9, vcc, 0, v7, vcc
	v_mul_lo_u32 v10, s25, v4
	v_mul_lo_u32 v11, s24, v9
	v_mad_u64_u32 v[7:8], s[0:1], s24, v4, 0
	v_add3_u32 v8, v8, v11, v10
	v_sub_u32_e32 v10, v6, v8
	v_mov_b32_e32 v11, s25
	v_sub_co_u32_e32 v7, vcc, v5, v7
	v_subb_co_u32_e64 v10, s[0:1], v10, v11, vcc
	v_subrev_co_u32_e64 v11, s[0:1], s24, v7
	v_subbrev_co_u32_e64 v10, s[0:1], 0, v10, s[0:1]
	v_cmp_le_u32_e64 s[0:1], s25, v10
	v_cndmask_b32_e64 v12, 0, -1, s[0:1]
	v_cmp_le_u32_e64 s[0:1], s24, v11
	v_cndmask_b32_e64 v11, 0, -1, s[0:1]
	v_cmp_eq_u32_e64 s[0:1], s25, v10
	v_cndmask_b32_e64 v10, v12, v11, s[0:1]
	v_add_co_u32_e64 v11, s[0:1], 2, v4
	v_addc_co_u32_e64 v12, s[0:1], 0, v9, s[0:1]
	v_add_co_u32_e64 v13, s[0:1], 1, v4
	v_addc_co_u32_e64 v14, s[0:1], 0, v9, s[0:1]
	v_subb_co_u32_e32 v8, vcc, v6, v8, vcc
	v_cmp_ne_u32_e64 s[0:1], 0, v10
	v_cmp_le_u32_e32 vcc, s25, v8
	v_cndmask_b32_e64 v10, v14, v12, s[0:1]
	v_cndmask_b32_e64 v12, 0, -1, vcc
	v_cmp_le_u32_e32 vcc, s24, v7
	v_cndmask_b32_e64 v7, 0, -1, vcc
	v_cmp_eq_u32_e32 vcc, s25, v8
	v_cndmask_b32_e32 v7, v12, v7, vcc
	v_cmp_ne_u32_e32 vcc, 0, v7
	v_cndmask_b32_e64 v7, v13, v11, s[0:1]
	v_cndmask_b32_e32 v55, v9, v10, vcc
	v_cndmask_b32_e32 v54, v4, v7, vcc
.LBB0_4:                                ;   in Loop: Header=BB0_2 Depth=1
	s_andn2_saveexec_b64 s[0:1], s[26:27]
	s_cbranch_execz .LBB0_6
; %bb.5:                                ;   in Loop: Header=BB0_2 Depth=1
	v_cvt_f32_u32_e32 v4, s24
	s_sub_i32 s26, 0, s24
	v_mov_b32_e32 v55, v3
	v_rcp_iflag_f32_e32 v4, v4
	v_mul_f32_e32 v4, 0x4f7ffffe, v4
	v_cvt_u32_f32_e32 v4, v4
	v_mul_lo_u32 v7, s26, v4
	v_mul_hi_u32 v7, v4, v7
	v_add_u32_e32 v4, v4, v7
	v_mul_hi_u32 v4, v5, v4
	v_mul_lo_u32 v7, v4, s24
	v_add_u32_e32 v8, 1, v4
	v_sub_u32_e32 v7, v5, v7
	v_subrev_u32_e32 v9, s24, v7
	v_cmp_le_u32_e32 vcc, s24, v7
	v_cndmask_b32_e32 v7, v7, v9, vcc
	v_cndmask_b32_e32 v4, v4, v8, vcc
	v_add_u32_e32 v8, 1, v4
	v_cmp_le_u32_e32 vcc, s24, v7
	v_cndmask_b32_e32 v54, v4, v8, vcc
.LBB0_6:                                ;   in Loop: Header=BB0_2 Depth=1
	s_or_b64 exec, exec, s[0:1]
	v_mul_lo_u32 v4, v55, s24
	v_mul_lo_u32 v9, v54, s25
	v_mad_u64_u32 v[7:8], s[0:1], v54, s24, 0
	s_load_dwordx2 s[0:1], s[6:7], 0x0
	s_load_dwordx2 s[24:25], s[2:3], 0x0
	v_add3_u32 v4, v8, v9, v4
	v_sub_co_u32_e32 v5, vcc, v5, v7
	v_subb_co_u32_e32 v4, vcc, v6, v4, vcc
	s_waitcnt lgkmcnt(0)
	v_mul_lo_u32 v6, s0, v4
	v_mul_lo_u32 v7, s1, v5
	v_mad_u64_u32 v[1:2], s[0:1], s0, v5, v[1:2]
	v_mul_lo_u32 v4, s24, v4
	v_mul_lo_u32 v8, s25, v5
	v_mad_u64_u32 v[52:53], s[0:1], s24, v5, v[52:53]
	s_add_u32 s22, s22, 1
	s_addc_u32 s23, s23, 0
	s_add_u32 s2, s2, 8
	v_add3_u32 v53, v8, v53, v4
	s_addc_u32 s3, s3, 0
	v_mov_b32_e32 v4, s14
	s_add_u32 s6, s6, 8
	v_mov_b32_e32 v5, s15
	s_addc_u32 s7, s7, 0
	v_cmp_ge_u64_e32 vcc, s[22:23], v[4:5]
	s_add_u32 s20, s20, 8
	v_add3_u32 v2, v7, v2, v6
	s_addc_u32 s21, s21, 0
	s_cbranch_vccnz .LBB0_9
; %bb.7:                                ;   in Loop: Header=BB0_2 Depth=1
	v_mov_b32_e32 v5, v54
	v_mov_b32_e32 v6, v55
	s_branch .LBB0_2
.LBB0_8:
	v_mov_b32_e32 v53, v2
	v_mov_b32_e32 v55, v6
	;; [unrolled: 1-line block ×4, first 2 shown]
.LBB0_9:
	s_load_dwordx2 s[2:3], s[4:5], 0x28
	s_lshl_b64 s[6:7], s[14:15], 3
	s_add_u32 s4, s18, s6
	s_addc_u32 s5, s19, s7
                                        ; implicit-def: $vgpr56
	s_waitcnt lgkmcnt(0)
	v_cmp_gt_u64_e64 s[0:1], s[2:3], v[54:55]
	v_cmp_le_u64_e32 vcc, s[2:3], v[54:55]
	s_and_saveexec_b64 s[2:3], vcc
	s_xor_b64 s[2:3], exec, s[2:3]
; %bb.10:
	s_mov_b32 s14, 0x1681682
	v_mul_hi_u32 v1, v0, s14
	v_mul_u32_u24_e32 v1, 0xb6, v1
	v_sub_u32_e32 v56, v0, v1
                                        ; implicit-def: $vgpr0
                                        ; implicit-def: $vgpr1_vgpr2
; %bb.11:
	s_or_saveexec_b64 s[2:3], s[2:3]
	s_load_dwordx2 s[4:5], s[4:5], 0x0
	s_xor_b64 exec, exec, s[2:3]
	s_cbranch_execz .LBB0_15
; %bb.12:
	s_add_u32 s6, s16, s6
	s_addc_u32 s7, s17, s7
	s_load_dwordx2 s[6:7], s[6:7], 0x0
	s_mov_b32 s14, 0x1681682
	v_mul_hi_u32 v5, v0, s14
	v_lshlrev_b64 v[1:2], 4, v[1:2]
	s_waitcnt lgkmcnt(0)
	v_mul_lo_u32 v6, s7, v54
	v_mul_lo_u32 v7, s6, v55
	v_mad_u64_u32 v[3:4], s[6:7], s6, v54, 0
	v_mul_u32_u24_e32 v5, 0xb6, v5
	v_sub_u32_e32 v56, v0, v5
	v_add3_u32 v4, v4, v7, v6
	v_lshlrev_b64 v[3:4], 4, v[3:4]
	v_mov_b32_e32 v0, s9
	v_add_co_u32_e32 v3, vcc, s8, v3
	v_addc_co_u32_e32 v0, vcc, v0, v4, vcc
	v_add_co_u32_e32 v1, vcc, v3, v1
	v_addc_co_u32_e32 v0, vcc, v0, v2, vcc
	v_lshlrev_b32_e32 v33, 4, v56
	v_add_co_u32_e32 v25, vcc, v1, v33
	v_addc_co_u32_e32 v26, vcc, 0, v0, vcc
	s_movk_i32 s6, 0x1000
	v_add_co_u32_e32 v18, vcc, s6, v25
	v_addc_co_u32_e32 v19, vcc, 0, v26, vcc
	s_movk_i32 s6, 0x2000
	v_add_co_u32_e32 v27, vcc, s6, v25
	v_addc_co_u32_e32 v28, vcc, 0, v26, vcc
	v_add_co_u32_e32 v29, vcc, 0x3000, v25
	v_addc_co_u32_e32 v30, vcc, 0, v26, vcc
	global_load_dwordx4 v[2:5], v[25:26], off
	global_load_dwordx4 v[6:9], v[25:26], off offset:2912
	global_load_dwordx4 v[10:13], v[18:19], off offset:1728
	;; [unrolled: 1-line block ×3, first 2 shown]
	v_add_co_u32_e32 v31, vcc, 0x4000, v25
	global_load_dwordx4 v[18:21], v[27:28], off offset:3456
	global_load_dwordx4 v[22:25], v[29:30], off offset:2272
	v_addc_co_u32_e32 v32, vcc, 0, v26, vcc
	global_load_dwordx4 v[26:29], v[31:32], off offset:1088
	s_movk_i32 s6, 0xb5
	v_add_u32_e32 v30, 0, v33
	v_cmp_eq_u32_e32 vcc, s6, v56
	s_waitcnt vmcnt(6)
	ds_write_b128 v30, v[2:5]
	s_waitcnt vmcnt(5)
	ds_write_b128 v30, v[6:9] offset:2912
	s_waitcnt vmcnt(4)
	ds_write_b128 v30, v[10:13] offset:5824
	;; [unrolled: 2-line block ×6, first 2 shown]
	s_and_saveexec_b64 s[6:7], vcc
	s_cbranch_execz .LBB0_14
; %bb.13:
	v_add_co_u32_e32 v1, vcc, 0x4000, v1
	v_addc_co_u32_e32 v2, vcc, 0, v0, vcc
	global_load_dwordx4 v[0:3], v[1:2], off offset:4000
	v_mov_b32_e32 v4, 0
	v_mov_b32_e32 v56, 0xb5
	s_waitcnt vmcnt(0)
	ds_write_b128 v4, v[0:3] offset:20384
.LBB0_14:
	s_or_b64 exec, exec, s[6:7]
.LBB0_15:
	s_or_b64 exec, exec, s[2:3]
	v_lshlrev_b32_e32 v0, 4, v56
	v_add_u32_e32 v125, 0, v0
	s_waitcnt lgkmcnt(0)
	s_barrier
	v_sub_u32_e32 v6, 0, v0
	ds_read_b64 v[2:3], v125
	ds_read_b64 v[4:5], v6 offset:20384
	s_add_u32 s6, s12, 0x4f80
	s_addc_u32 s7, s13, 0
	v_cmp_ne_u32_e32 vcc, 0, v56
	s_waitcnt lgkmcnt(0)
	v_add_f64 v[0:1], v[2:3], v[4:5]
	v_add_f64 v[2:3], v[2:3], -v[4:5]
                                        ; implicit-def: $vgpr4_vgpr5
	s_and_saveexec_b64 s[2:3], vcc
	s_xor_b64 s[2:3], exec, s[2:3]
	s_cbranch_execz .LBB0_17
; %bb.16:
	v_mov_b32_e32 v57, 0
	v_lshlrev_b64 v[4:5], 4, v[56:57]
	v_mov_b32_e32 v7, s7
	v_add_co_u32_e32 v4, vcc, s6, v4
	v_addc_co_u32_e32 v5, vcc, v7, v5, vcc
	global_load_dwordx4 v[7:10], v[4:5], off
	ds_read_b64 v[4:5], v6 offset:20392
	ds_read_b64 v[11:12], v125 offset:8
	s_waitcnt lgkmcnt(0)
	v_add_f64 v[13:14], v[4:5], v[11:12]
	v_add_f64 v[4:5], v[11:12], -v[4:5]
	s_waitcnt vmcnt(0)
	v_fma_f64 v[11:12], v[2:3], v[9:10], v[0:1]
	v_fma_f64 v[15:16], v[13:14], v[9:10], v[4:5]
	v_fma_f64 v[4:5], v[13:14], v[9:10], -v[4:5]
	v_fma_f64 v[0:1], -v[2:3], v[9:10], v[0:1]
	v_fma_f64 v[9:10], -v[13:14], v[7:8], v[11:12]
	v_fma_f64 v[11:12], v[2:3], v[7:8], v[15:16]
	v_fma_f64 v[2:3], v[2:3], v[7:8], v[4:5]
	;; [unrolled: 1-line block ×3, first 2 shown]
	v_mov_b32_e32 v4, v56
	v_mov_b32_e32 v5, v57
	ds_write_b128 v125, v[9:12]
	ds_write_b128 v6, v[0:3] offset:20384
                                        ; implicit-def: $vgpr0_vgpr1
.LBB0_17:
	s_andn2_saveexec_b64 s[2:3], s[2:3]
	s_cbranch_execz .LBB0_19
; %bb.18:
	ds_write_b128 v125, v[0:3]
	v_mov_b32_e32 v7, 0
	ds_read_b128 v[0:3], v7 offset:10192
	v_mov_b32_e32 v4, 0
	v_mov_b32_e32 v5, 0
	s_waitcnt lgkmcnt(0)
	v_add_f64 v[0:1], v[0:1], v[0:1]
	v_mul_f64 v[2:3], v[2:3], -2.0
	ds_write_b128 v7, v[0:3] offset:10192
.LBB0_19:
	s_or_b64 exec, exec, s[2:3]
	v_lshlrev_b64 v[0:1], 4, v[4:5]
	v_mov_b32_e32 v2, s7
	v_add_co_u32_e32 v0, vcc, s6, v0
	v_addc_co_u32_e32 v1, vcc, v2, v1, vcc
	global_load_dwordx4 v[2:5], v[0:1], off offset:2912
	s_movk_i32 s2, 0x1000
	v_add_co_u32_e32 v7, vcc, s2, v0
	v_addc_co_u32_e32 v8, vcc, 0, v1, vcc
	global_load_dwordx4 v[7:10], v[7:8], off offset:1728
	ds_read_b128 v[11:14], v125 offset:2912
	ds_read_b128 v[15:18], v6 offset:17472
	s_movk_i32 s2, 0x5b
	v_cmp_gt_u32_e32 vcc, s2, v56
	s_waitcnt lgkmcnt(0)
	v_add_f64 v[19:20], v[11:12], v[15:16]
	v_add_f64 v[21:22], v[17:18], v[13:14]
	v_add_f64 v[23:24], v[11:12], -v[15:16]
	v_add_f64 v[11:12], v[13:14], -v[17:18]
	s_waitcnt vmcnt(1)
	v_fma_f64 v[13:14], v[23:24], v[4:5], v[19:20]
	v_fma_f64 v[15:16], v[21:22], v[4:5], v[11:12]
	v_fma_f64 v[17:18], -v[23:24], v[4:5], v[19:20]
	v_fma_f64 v[4:5], v[21:22], v[4:5], -v[11:12]
	v_fma_f64 v[11:12], -v[21:22], v[2:3], v[13:14]
	v_fma_f64 v[13:14], v[23:24], v[2:3], v[15:16]
	v_fma_f64 v[15:16], v[21:22], v[2:3], v[17:18]
	;; [unrolled: 1-line block ×3, first 2 shown]
	ds_write_b128 v125, v[11:14] offset:2912
	ds_write_b128 v6, v[15:18] offset:17472
	ds_read_b128 v[2:5], v125 offset:5824
	ds_read_b128 v[11:14], v6 offset:14560
	s_waitcnt lgkmcnt(0)
	v_add_f64 v[15:16], v[2:3], v[11:12]
	v_add_f64 v[17:18], v[13:14], v[4:5]
	v_add_f64 v[11:12], v[2:3], -v[11:12]
	v_add_f64 v[2:3], v[4:5], -v[13:14]
	s_waitcnt vmcnt(0)
	v_fma_f64 v[4:5], v[11:12], v[9:10], v[15:16]
	v_fma_f64 v[13:14], v[17:18], v[9:10], v[2:3]
	v_fma_f64 v[15:16], -v[11:12], v[9:10], v[15:16]
	v_fma_f64 v[19:20], v[17:18], v[9:10], -v[2:3]
	v_fma_f64 v[2:3], -v[17:18], v[7:8], v[4:5]
	v_fma_f64 v[4:5], v[11:12], v[7:8], v[13:14]
	v_fma_f64 v[9:10], v[17:18], v[7:8], v[15:16]
	;; [unrolled: 1-line block ×3, first 2 shown]
	ds_write_b128 v125, v[2:5] offset:5824
	ds_write_b128 v6, v[9:12] offset:14560
	s_and_saveexec_b64 s[6:7], vcc
	s_cbranch_execz .LBB0_21
; %bb.20:
	s_movk_i32 s2, 0x2000
	v_add_co_u32_e64 v0, s[2:3], s2, v0
	v_addc_co_u32_e64 v1, s[2:3], 0, v1, s[2:3]
	global_load_dwordx4 v[0:3], v[0:1], off offset:544
	ds_read_b128 v[7:10], v125 offset:8736
	ds_read_b128 v[11:14], v6 offset:11648
	s_waitcnt lgkmcnt(0)
	v_add_f64 v[4:5], v[7:8], v[11:12]
	v_add_f64 v[15:16], v[13:14], v[9:10]
	v_add_f64 v[11:12], v[7:8], -v[11:12]
	v_add_f64 v[7:8], v[9:10], -v[13:14]
	s_waitcnt vmcnt(0)
	v_fma_f64 v[9:10], v[11:12], v[2:3], v[4:5]
	v_fma_f64 v[13:14], v[15:16], v[2:3], v[7:8]
	v_fma_f64 v[17:18], -v[11:12], v[2:3], v[4:5]
	v_fma_f64 v[19:20], v[15:16], v[2:3], -v[7:8]
	v_fma_f64 v[2:3], -v[15:16], v[0:1], v[9:10]
	v_fma_f64 v[4:5], v[11:12], v[0:1], v[13:14]
	v_fma_f64 v[7:8], v[15:16], v[0:1], v[17:18]
	;; [unrolled: 1-line block ×3, first 2 shown]
	ds_write_b128 v125, v[2:5] offset:8736
	ds_write_b128 v6, v[7:10] offset:11648
.LBB0_21:
	s_or_b64 exec, exec, s[6:7]
	s_waitcnt lgkmcnt(0)
	s_barrier
	s_barrier
	ds_read_b128 v[0:3], v125 offset:10192
	ds_read_b128 v[12:15], v125
	ds_read_b128 v[20:23], v125 offset:2912
	ds_read_b128 v[8:11], v125 offset:13104
	;; [unrolled: 1-line block ×3, first 2 shown]
	s_waitcnt lgkmcnt(3)
	v_add_f64 v[4:5], v[12:13], -v[0:1]
	v_add_f64 v[6:7], v[14:15], -v[2:3]
	ds_read_b128 v[24:27], v125 offset:5824
	ds_read_b128 v[32:35], v125 offset:8736
	;; [unrolled: 1-line block ×3, first 2 shown]
	s_waitcnt lgkmcnt(4)
	v_add_f64 v[8:9], v[20:21], -v[8:9]
	v_add_f64 v[10:11], v[22:23], -v[10:11]
	s_waitcnt lgkmcnt(2)
	v_add_f64 v[16:17], v[24:25], -v[16:17]
	v_add_f64 v[18:19], v[26:27], -v[18:19]
	s_waitcnt lgkmcnt(0)
	v_add_f64 v[28:29], v[32:33], -v[0:1]
	v_add_f64 v[30:31], v[34:35], -v[2:3]
	v_fma_f64 v[0:1], v[12:13], 2.0, -v[4:5]
	v_fma_f64 v[2:3], v[14:15], 2.0, -v[6:7]
	;; [unrolled: 1-line block ×8, first 2 shown]
	v_lshl_add_u32 v32, v56, 4, v125
	s_barrier
	ds_write_b128 v32, v[0:3]
	ds_write_b128 v32, v[4:7] offset:16
	v_lshl_add_u32 v32, v56, 5, 0
	ds_write_b128 v32, v[12:15] offset:5824
	ds_write_b128 v32, v[8:11] offset:5840
	;; [unrolled: 1-line block ×4, first 2 shown]
	s_and_saveexec_b64 s[2:3], vcc
	s_cbranch_execz .LBB0_23
; %bb.22:
	ds_write_b128 v32, v[24:27] offset:17472
	ds_write_b128 v32, v[28:31] offset:17488
.LBB0_23:
	s_or_b64 exec, exec, s[2:3]
	s_movk_i32 s2, 0x62
	v_cmp_gt_u32_e32 vcc, s2, v56
	s_waitcnt lgkmcnt(0)
	s_barrier
	s_waitcnt lgkmcnt(0)
                                        ; implicit-def: $vgpr50_vgpr51
                                        ; implicit-def: $vgpr46_vgpr47
                                        ; implicit-def: $vgpr38_vgpr39
                                        ; implicit-def: $vgpr42_vgpr43
                                        ; implicit-def: $vgpr34_vgpr35
	s_and_saveexec_b64 s[2:3], vcc
	s_cbranch_execz .LBB0_25
; %bb.24:
	ds_read_b128 v[0:3], v125
	ds_read_b128 v[4:7], v125 offset:1568
	ds_read_b128 v[12:15], v125 offset:3136
	;; [unrolled: 1-line block ×12, first 2 shown]
.LBB0_25:
	s_or_b64 exec, exec, s[2:3]
	s_waitcnt lgkmcnt(0)
	s_barrier
	s_and_saveexec_b64 s[2:3], vcc
	s_cbranch_execz .LBB0_27
; %bb.26:
	v_and_b32_e32 v126, 1, v56
	v_mul_u32_u24_e32 v57, 12, v126
	v_lshlrev_b32_e32 v65, 4, v57
	global_load_dwordx4 v[57:60], v65, s[12:13] offset:80
	global_load_dwordx4 v[61:64], v65, s[12:13] offset:96
	;; [unrolled: 1-line block ×10, first 2 shown]
	global_load_dwordx4 v[115:118], v65, s[12:13]
	global_load_dwordx4 v[119:122], v65, s[12:13] offset:176
	s_mov_b32 s8, 0x4bc48dbf
	s_mov_b32 s9, 0xbfcea1e5
	;; [unrolled: 1-line block ×32, first 2 shown]
	s_waitcnt vmcnt(11)
	v_mul_f64 v[65:66], v[26:27], v[59:60]
	v_mul_f64 v[59:60], v[24:25], v[59:60]
	s_waitcnt vmcnt(10)
	v_mul_f64 v[81:82], v[30:31], v[63:64]
	v_mul_f64 v[63:64], v[28:29], v[63:64]
	s_waitcnt vmcnt(8)
	v_mul_f64 v[89:90], v[34:35], v[73:74]
	s_waitcnt vmcnt(6)
	;; [unrolled: 2-line block ×6, first 2 shown]
	v_mul_f64 v[127:128], v[46:47], v[113:114]
	v_mul_f64 v[129:130], v[44:45], v[113:114]
	s_waitcnt vmcnt(1)
	v_mul_f64 v[113:114], v[6:7], v[117:118]
	s_waitcnt vmcnt(0)
	v_mul_f64 v[131:132], v[50:51], v[121:122]
	v_mul_f64 v[117:118], v[4:5], v[117:118]
	;; [unrolled: 1-line block ×3, first 2 shown]
	v_fma_f64 v[65:66], v[24:25], v[57:58], v[65:66]
	v_mul_f64 v[103:104], v[36:37], v[103:104]
	v_mul_f64 v[109:110], v[12:13], v[109:110]
	v_fma_f64 v[75:76], v[26:27], v[57:58], -v[59:60]
	v_fma_f64 v[113:114], v[4:5], v[115:116], v[113:114]
	v_fma_f64 v[24:25], v[48:49], v[119:120], v[131:132]
	;; [unrolled: 1-line block ×4, first 2 shown]
	v_fma_f64 v[115:116], v[6:7], v[115:116], -v[117:118]
	v_fma_f64 v[26:27], v[50:51], v[119:120], -v[121:122]
	v_fma_f64 v[28:29], v[44:45], v[111:112], v[127:128]
	v_fma_f64 v[36:37], v[36:37], v[101:102], v[123:124]
	v_mul_f64 v[73:74], v[32:33], v[73:74]
	v_add_f64 v[123:124], v[113:114], -v[24:25]
	v_mul_f64 v[91:92], v[22:23], v[79:80]
	v_mul_f64 v[79:80], v[20:21], v[79:80]
	;; [unrolled: 1-line block ×3, first 2 shown]
	v_fma_f64 v[63:64], v[30:31], v[61:62], -v[63:64]
	v_fma_f64 v[57:58], v[32:33], v[71:72], v[89:90]
	v_fma_f64 v[32:33], v[40:41], v[85:86], v[93:94]
	;; [unrolled: 1-line block ×3, first 2 shown]
	v_fma_f64 v[109:110], v[14:15], v[107:108], -v[109:110]
	v_fma_f64 v[30:31], v[46:47], v[111:112], -v[129:130]
	v_add_f64 v[119:120], v[115:116], v[26:27]
	v_add_f64 v[111:112], v[105:106], -v[28:29]
	v_mul_f64 v[4:5], v[123:124], s[8:9]
	v_mul_f64 v[83:84], v[18:19], v[69:70]
	;; [unrolled: 1-line block ×4, first 2 shown]
	v_fma_f64 v[89:90], v[20:21], v[77:78], v[91:92]
	v_fma_f64 v[91:92], v[22:23], v[77:78], -v[79:80]
	v_fma_f64 v[99:100], v[10:11], v[95:96], -v[97:98]
	;; [unrolled: 1-line block ×3, first 2 shown]
	v_add_f64 v[121:122], v[115:116], -v[26:27]
	v_add_f64 v[77:78], v[109:110], v[30:31]
	v_add_f64 v[103:104], v[93:94], -v[36:37]
	v_mul_f64 v[8:9], v[111:112], s[22:23]
	v_fma_f64 v[10:11], v[119:120], s[6:7], v[4:5]
	v_fma_f64 v[81:82], v[16:17], v[67:68], v[83:84]
	v_fma_f64 v[83:84], v[18:19], v[67:68], -v[69:70]
	v_fma_f64 v[61:62], v[34:35], v[71:72], -v[73:74]
	;; [unrolled: 1-line block ×3, first 2 shown]
	v_add_f64 v[117:118], v[113:114], v[24:25]
	v_add_f64 v[107:108], v[109:110], -v[30:31]
	v_add_f64 v[69:70], v[99:100], v[38:39]
	v_add_f64 v[97:98], v[89:90], -v[32:33]
	v_mul_f64 v[6:7], v[121:122], s[8:9]
	v_mul_f64 v[14:15], v[103:104], s[18:19]
	v_fma_f64 v[127:128], v[77:78], s[14:15], v[8:9]
	v_add_f64 v[10:11], v[2:3], v[10:11]
	v_add_f64 v[79:80], v[105:106], v[28:29]
	v_add_f64 v[101:102], v[99:100], -v[38:39]
	v_add_f64 v[48:49], v[91:92], v[34:35]
	v_add_f64 v[85:86], v[81:82], -v[57:58]
	v_mul_f64 v[12:13], v[107:108], s[22:23]
	v_mul_f64 v[18:19], v[97:98], s[36:37]
	v_fma_f64 v[22:23], v[117:118], s[6:7], -v[6:7]
	v_fma_f64 v[139:140], v[69:70], s[16:17], v[14:15]
	v_add_f64 v[10:11], v[127:128], v[10:11]
	v_fma_f64 v[4:5], v[119:120], s[6:7], -v[4:5]
	v_add_f64 v[71:72], v[93:94], v[36:37]
	v_add_f64 v[95:96], v[91:92], -v[34:35]
	v_add_f64 v[44:45], v[83:84], v[61:62]
	v_add_f64 v[67:68], v[65:66], -v[59:60]
	v_mul_f64 v[16:17], v[101:102], s[18:19]
	v_mul_f64 v[129:130], v[85:86], s[28:29]
	v_fma_f64 v[137:138], v[79:80], s[14:15], -v[12:13]
	v_add_f64 v[22:23], v[0:1], v[22:23]
	v_fma_f64 v[147:148], v[48:49], s[20:21], v[18:19]
	v_add_f64 v[10:11], v[139:140], v[10:11]
	v_fma_f64 v[8:9], v[77:78], s[14:15], -v[8:9]
	v_fma_f64 v[6:7], v[117:118], s[6:7], v[6:7]
	v_add_f64 v[4:5], v[2:3], v[4:5]
	v_add_f64 v[50:51], v[89:90], v[32:33]
	v_add_f64 v[87:88], v[83:84], -v[61:62]
	v_add_f64 v[40:41], v[75:76], v[63:64]
	v_mul_f64 v[20:21], v[95:96], s[36:37]
	v_mul_f64 v[133:134], v[67:68], s[34:35]
	;; [unrolled: 1-line block ×3, first 2 shown]
	v_fma_f64 v[145:146], v[71:72], s[16:17], -v[16:17]
	v_add_f64 v[22:23], v[137:138], v[22:23]
	v_fma_f64 v[139:140], v[44:45], s[24:25], v[129:130]
	v_add_f64 v[10:11], v[147:148], v[10:11]
	v_fma_f64 v[12:13], v[79:80], s[14:15], v[12:13]
	v_fma_f64 v[14:15], v[69:70], s[16:17], -v[14:15]
	v_add_f64 v[6:7], v[0:1], v[6:7]
	v_add_f64 v[4:5], v[8:9], v[4:5]
	;; [unrolled: 1-line block ×3, first 2 shown]
	v_add_f64 v[73:74], v[75:76], -v[63:64]
	v_mul_f64 v[131:132], v[87:88], s[28:29]
	v_mul_f64 v[141:142], v[111:112], s[34:35]
	;; [unrolled: 1-line block ×3, first 2 shown]
	v_fma_f64 v[137:138], v[50:51], s[20:21], -v[20:21]
	v_add_f64 v[22:23], v[145:146], v[22:23]
	v_fma_f64 v[145:146], v[40:41], s[26:27], v[133:134]
	v_fma_f64 v[8:9], v[119:120], s[16:17], v[127:128]
	v_add_f64 v[10:11], v[139:140], v[10:11]
	v_fma_f64 v[16:17], v[71:72], s[16:17], v[16:17]
	v_fma_f64 v[18:19], v[48:49], s[20:21], -v[18:19]
	v_add_f64 v[12:13], v[12:13], v[6:7]
	v_add_f64 v[4:5], v[14:15], v[4:5]
	;; [unrolled: 1-line block ×3, first 2 shown]
	v_mul_f64 v[135:136], v[73:74], s[34:35]
	v_fma_f64 v[149:150], v[46:47], s[24:25], -v[131:132]
	v_add_f64 v[22:23], v[137:138], v[22:23]
	v_fma_f64 v[137:138], v[77:78], s[26:27], v[141:142]
	v_add_f64 v[8:9], v[2:3], v[8:9]
	v_add_f64 v[6:7], v[145:146], v[10:11]
	v_mul_f64 v[10:11], v[103:104], s[30:31]
	v_add_f64 v[12:13], v[16:17], v[12:13]
	v_add_f64 v[16:17], v[18:19], v[4:5]
	v_fma_f64 v[4:5], v[117:118], s[16:17], -v[143:144]
	v_mul_f64 v[18:19], v[107:108], s[34:35]
	v_add_f64 v[14:15], v[149:150], v[22:23]
	v_fma_f64 v[22:23], v[42:43], s[26:27], -v[135:136]
	v_fma_f64 v[20:21], v[50:51], s[20:21], v[20:21]
	v_add_f64 v[8:9], v[137:138], v[8:9]
	v_fma_f64 v[137:138], v[69:70], s[20:21], v[10:11]
	v_mul_f64 v[139:140], v[97:98], s[42:43]
	v_add_f64 v[4:5], v[0:1], v[4:5]
	v_fma_f64 v[145:146], v[79:80], s[26:27], -v[18:19]
	v_mul_f64 v[147:148], v[101:102], s[30:31]
	v_fma_f64 v[129:130], v[44:45], s[24:25], -v[129:130]
	v_add_f64 v[12:13], v[20:21], v[12:13]
	v_fma_f64 v[20:21], v[46:47], s[24:25], v[131:132]
	v_add_f64 v[8:9], v[137:138], v[8:9]
	v_fma_f64 v[131:132], v[48:49], s[6:7], v[139:140]
	v_mul_f64 v[137:138], v[85:86], s[22:23]
	v_add_f64 v[145:146], v[145:146], v[4:5]
	v_fma_f64 v[149:150], v[71:72], s[20:21], -v[147:148]
	v_mul_f64 v[151:152], v[95:96], s[42:43]
	v_add_f64 v[4:5], v[22:23], v[14:15]
	v_add_f64 v[14:15], v[129:130], v[16:17]
	v_fma_f64 v[16:17], v[119:120], s[16:17], -v[127:128]
	v_add_f64 v[12:13], v[20:21], v[12:13]
	v_add_f64 v[8:9], v[131:132], v[8:9]
	v_fma_f64 v[20:21], v[44:45], s[14:15], v[137:138]
	v_add_f64 v[22:23], v[149:150], v[145:146]
	v_fma_f64 v[127:128], v[50:51], s[6:7], -v[151:152]
	v_mul_f64 v[129:130], v[87:88], s[22:23]
	v_mul_f64 v[131:132], v[67:68], s[28:29]
	v_fma_f64 v[141:142], v[77:78], s[26:27], -v[141:142]
	v_add_f64 v[16:17], v[2:3], v[16:17]
	v_fma_f64 v[133:134], v[40:41], s[26:27], -v[133:134]
	v_fma_f64 v[135:136], v[42:43], s[26:27], v[135:136]
	v_add_f64 v[20:21], v[20:21], v[8:9]
	v_add_f64 v[22:23], v[127:128], v[22:23]
	v_fma_f64 v[127:128], v[46:47], s[14:15], -v[129:130]
	v_fma_f64 v[145:146], v[40:41], s[24:25], v[131:132]
	v_mul_f64 v[149:150], v[73:74], s[28:29]
	v_add_f64 v[16:17], v[141:142], v[16:17]
	v_fma_f64 v[141:142], v[69:70], s[20:21], -v[10:11]
	v_add_f64 v[10:11], v[133:134], v[14:15]
	v_fma_f64 v[133:134], v[117:118], s[16:17], v[143:144]
	v_add_f64 v[8:9], v[135:136], v[12:13]
	v_add_f64 v[12:13], v[127:128], v[22:23]
	;; [unrolled: 1-line block ×3, first 2 shown]
	v_fma_f64 v[20:21], v[42:43], s[24:25], -v[149:150]
	v_mul_f64 v[22:23], v[123:124], s[28:29]
	v_fma_f64 v[18:19], v[79:80], s[26:27], v[18:19]
	v_mul_f64 v[135:136], v[121:122], s[28:29]
	v_add_f64 v[127:128], v[0:1], v[133:134]
	v_add_f64 v[16:17], v[141:142], v[16:17]
	v_fma_f64 v[133:134], v[48:49], s[6:7], -v[139:140]
	v_mul_f64 v[141:142], v[111:112], s[40:41]
	v_add_f64 v[12:13], v[20:21], v[12:13]
	v_fma_f64 v[139:140], v[119:120], s[24:25], v[22:23]
	v_fma_f64 v[20:21], v[71:72], s[20:21], v[147:148]
	v_mul_f64 v[143:144], v[107:108], s[40:41]
	v_add_f64 v[18:19], v[18:19], v[127:128]
	v_fma_f64 v[127:128], v[117:118], s[24:25], -v[135:136]
	v_add_f64 v[16:17], v[133:134], v[16:17]
	v_mul_f64 v[145:146], v[103:104], s[22:23]
	v_mul_f64 v[147:148], v[101:102], s[22:23]
	v_add_f64 v[133:134], v[2:3], v[139:140]
	v_fma_f64 v[139:140], v[77:78], s[16:17], v[141:142]
	v_fma_f64 v[151:152], v[50:51], s[6:7], v[151:152]
	v_add_f64 v[18:19], v[20:21], v[18:19]
	v_add_f64 v[20:21], v[0:1], v[127:128]
	v_fma_f64 v[127:128], v[79:80], s[16:17], -v[143:144]
	v_fma_f64 v[137:138], v[44:45], s[14:15], -v[137:138]
	v_mul_f64 v[153:154], v[97:98], s[38:39]
	v_mul_f64 v[155:156], v[95:96], s[38:39]
	v_add_f64 v[133:134], v[139:140], v[133:134]
	v_fma_f64 v[139:140], v[69:70], s[14:15], v[145:146]
	v_add_f64 v[18:19], v[151:152], v[18:19]
	v_fma_f64 v[129:130], v[46:47], s[14:15], v[129:130]
	v_add_f64 v[20:21], v[127:128], v[20:21]
	v_fma_f64 v[127:128], v[71:72], s[14:15], -v[147:148]
	v_add_f64 v[16:17], v[137:138], v[16:17]
	v_fma_f64 v[137:138], v[48:49], s[26:27], v[153:154]
	v_mul_f64 v[151:152], v[87:88], s[42:43]
	v_add_f64 v[133:134], v[139:140], v[133:134]
	v_mul_f64 v[139:140], v[85:86], s[42:43]
	v_add_f64 v[129:130], v[129:130], v[18:19]
	v_fma_f64 v[18:19], v[40:41], s[24:25], -v[131:132]
	v_add_f64 v[20:21], v[127:128], v[20:21]
	v_fma_f64 v[127:128], v[50:51], s[26:27], -v[155:156]
	v_fma_f64 v[131:132], v[42:43], s[24:25], v[149:150]
	v_fma_f64 v[22:23], v[119:120], s[24:25], -v[22:23]
	v_add_f64 v[133:134], v[137:138], v[133:134]
	v_fma_f64 v[137:138], v[44:45], s[6:7], v[139:140]
	v_mul_f64 v[149:150], v[67:68], s[36:37]
	v_add_f64 v[18:19], v[18:19], v[16:17]
	v_fma_f64 v[141:142], v[77:78], s[16:17], -v[141:142]
	v_add_f64 v[20:21], v[127:128], v[20:21]
	v_fma_f64 v[127:128], v[46:47], s[6:7], -v[151:152]
	v_add_f64 v[22:23], v[2:3], v[22:23]
	v_add_f64 v[16:17], v[131:132], v[129:130]
	v_fma_f64 v[131:132], v[117:118], s[24:25], v[135:136]
	v_add_f64 v[129:130], v[137:138], v[133:134]
	v_mul_f64 v[135:136], v[123:124], s[38:39]
	v_fma_f64 v[143:144], v[79:80], s[16:17], v[143:144]
	v_mul_f64 v[157:158], v[111:112], s[8:9]
	v_add_f64 v[20:21], v[127:128], v[20:21]
	v_fma_f64 v[127:128], v[40:41], s[20:21], v[149:150]
	v_add_f64 v[137:138], v[141:142], v[22:23]
	v_fma_f64 v[141:142], v[69:70], s[14:15], -v[145:146]
	v_add_f64 v[131:132], v[0:1], v[131:132]
	v_mul_f64 v[145:146], v[121:122], s[38:39]
	v_mul_f64 v[133:134], v[73:74], s[36:37]
	s_mov_b32 s37, 0x3fedeba7
	s_mov_b32 s36, s28
	v_add_f64 v[22:23], v[127:128], v[129:130]
	v_fma_f64 v[129:130], v[119:120], s[26:27], v[135:136]
	v_add_f64 v[137:138], v[141:142], v[137:138]
	v_fma_f64 v[141:142], v[48:49], s[26:27], -v[153:154]
	v_add_f64 v[131:132], v[143:144], v[131:132]
	v_fma_f64 v[143:144], v[117:118], s[26:27], -v[145:146]
	v_mul_f64 v[153:154], v[107:108], s[8:9]
	v_fma_f64 v[147:148], v[71:72], s[14:15], v[147:148]
	v_fma_f64 v[159:160], v[77:78], s[6:7], v[157:158]
	v_add_f64 v[129:130], v[2:3], v[129:130]
	v_mul_f64 v[161:162], v[103:104], s[36:37]
	v_mul_f64 v[165:166], v[101:102], s[36:37]
	v_add_f64 v[137:138], v[141:142], v[137:138]
	v_add_f64 v[143:144], v[0:1], v[143:144]
	v_fma_f64 v[163:164], v[79:80], s[6:7], -v[153:154]
	v_add_f64 v[131:132], v[147:148], v[131:132]
	v_fma_f64 v[141:142], v[50:51], s[26:27], v[155:156]
	v_add_f64 v[129:130], v[159:160], v[129:130]
	v_fma_f64 v[147:148], v[69:70], s[24:25], v[161:162]
	v_mul_f64 v[155:156], v[97:98], s[22:23]
	v_fma_f64 v[159:160], v[71:72], s[24:25], -v[165:166]
	v_fma_f64 v[127:128], v[42:43], s[20:21], -v[133:134]
	v_add_f64 v[143:144], v[163:164], v[143:144]
	v_mul_f64 v[163:164], v[95:96], s[22:23]
	v_fma_f64 v[139:140], v[44:45], s[6:7], -v[139:140]
	v_add_f64 v[131:132], v[141:142], v[131:132]
	v_fma_f64 v[141:142], v[46:47], s[6:7], v[151:152]
	v_add_f64 v[129:130], v[147:148], v[129:130]
	v_fma_f64 v[147:148], v[48:49], s[14:15], v[155:156]
	v_mul_f64 v[151:152], v[85:86], s[30:31]
	v_add_f64 v[143:144], v[159:160], v[143:144]
	v_fma_f64 v[159:160], v[50:51], s[14:15], -v[163:164]
	v_mul_f64 v[167:168], v[87:88], s[30:31]
	v_fma_f64 v[135:136], v[119:120], s[26:27], -v[135:136]
	v_add_f64 v[20:21], v[127:128], v[20:21]
	v_add_f64 v[127:128], v[139:140], v[137:138]
	;; [unrolled: 1-line block ×4, first 2 shown]
	v_fma_f64 v[137:138], v[44:45], s[20:21], v[151:152]
	v_add_f64 v[139:140], v[159:160], v[143:144]
	v_fma_f64 v[141:142], v[46:47], s[20:21], -v[167:168]
	v_mul_f64 v[143:144], v[67:68], s[18:19]
	v_mul_f64 v[147:148], v[73:74], s[18:19]
	v_fma_f64 v[149:150], v[40:41], s[20:21], -v[149:150]
	v_fma_f64 v[157:158], v[77:78], s[6:7], -v[157:158]
	v_add_f64 v[135:136], v[2:3], v[135:136]
	v_fma_f64 v[133:134], v[42:43], s[20:21], v[133:134]
	v_add_f64 v[137:138], v[137:138], v[129:130]
	v_add_f64 v[139:140], v[141:142], v[139:140]
	v_fma_f64 v[141:142], v[40:41], s[16:17], v[143:144]
	v_fma_f64 v[159:160], v[42:43], s[16:17], -v[147:148]
	v_add_f64 v[129:130], v[149:150], v[127:128]
	v_mul_f64 v[149:150], v[123:124], s[30:31]
	v_add_f64 v[135:136], v[157:158], v[135:136]
	v_fma_f64 v[157:158], v[69:70], s[24:25], -v[161:162]
	v_mul_f64 v[161:162], v[121:122], s[30:31]
	v_add_f64 v[127:128], v[133:134], v[131:132]
	v_add_f64 v[133:134], v[141:142], v[137:138]
	;; [unrolled: 1-line block ×3, first 2 shown]
	v_fma_f64 v[137:138], v[117:118], s[26:27], v[145:146]
	v_fma_f64 v[139:140], v[119:120], s[20:21], v[149:150]
	v_mul_f64 v[141:142], v[111:112], s[28:29]
	v_add_f64 v[135:136], v[157:158], v[135:136]
	v_fma_f64 v[145:146], v[117:118], s[20:21], -v[161:162]
	v_mul_f64 v[157:158], v[107:108], s[28:29]
	v_fma_f64 v[155:156], v[48:49], s[14:15], -v[155:156]
	v_fma_f64 v[153:154], v[79:80], s[6:7], v[153:154]
	v_add_f64 v[137:138], v[0:1], v[137:138]
	v_add_f64 v[139:140], v[2:3], v[139:140]
	v_fma_f64 v[159:160], v[77:78], s[24:25], v[141:142]
	v_mul_f64 v[169:170], v[103:104], s[8:9]
	v_add_f64 v[145:146], v[0:1], v[145:146]
	v_fma_f64 v[171:172], v[79:80], s[24:25], -v[157:158]
	v_mul_f64 v[173:174], v[101:102], s[8:9]
	v_add_f64 v[135:136], v[155:156], v[135:136]
	v_add_f64 v[137:138], v[153:154], v[137:138]
	v_fma_f64 v[153:154], v[71:72], s[24:25], v[165:166]
	v_add_f64 v[139:140], v[159:160], v[139:140]
	v_fma_f64 v[155:156], v[69:70], s[6:7], v[169:170]
	v_mul_f64 v[159:160], v[97:98], s[40:41]
	v_add_f64 v[145:146], v[171:172], v[145:146]
	v_fma_f64 v[165:166], v[71:72], s[6:7], -v[173:174]
	v_mul_f64 v[171:172], v[95:96], s[40:41]
	v_fma_f64 v[151:152], v[44:45], s[20:21], -v[151:152]
	v_add_f64 v[137:138], v[153:154], v[137:138]
	v_fma_f64 v[153:154], v[50:51], s[14:15], v[163:164]
	v_add_f64 v[139:140], v[155:156], v[139:140]
	v_fma_f64 v[155:156], v[48:49], s[16:17], v[159:160]
	v_mul_f64 v[163:164], v[85:86], s[34:35]
	v_add_f64 v[145:146], v[165:166], v[145:146]
	v_fma_f64 v[165:166], v[50:51], s[16:17], -v[171:172]
	v_mul_f64 v[175:176], v[87:88], s[34:35]
	v_add_f64 v[115:116], v[2:3], v[115:116]
	v_add_f64 v[113:114], v[0:1], v[113:114]
	;; [unrolled: 1-line block ×4, first 2 shown]
	v_fma_f64 v[151:152], v[46:47], s[20:21], v[167:168]
	v_fma_f64 v[143:144], v[40:41], s[16:17], -v[143:144]
	v_add_f64 v[139:140], v[155:156], v[139:140]
	v_fma_f64 v[153:154], v[44:45], s[26:27], v[163:164]
	v_add_f64 v[145:146], v[165:166], v[145:146]
	v_fma_f64 v[155:156], v[46:47], s[26:27], -v[175:176]
	v_mul_f64 v[165:166], v[67:68], s[22:23]
	v_mul_f64 v[167:168], v[73:74], s[22:23]
	v_add_f64 v[109:110], v[115:116], v[109:110]
	v_add_f64 v[105:106], v[113:114], v[105:106]
	s_mov_b32 s23, 0xbfddbe06
	v_add_f64 v[151:152], v[151:152], v[137:138]
	v_add_f64 v[137:138], v[143:144], v[135:136]
	;; [unrolled: 1-line block ×4, first 2 shown]
	v_fma_f64 v[145:146], v[40:41], s[14:15], v[165:166]
	v_fma_f64 v[153:154], v[42:43], s[14:15], -v[167:168]
	v_mul_f64 v[123:124], v[123:124], s[22:23]
	v_add_f64 v[99:100], v[109:110], v[99:100]
	v_add_f64 v[93:94], v[105:106], v[93:94]
	v_fma_f64 v[149:150], v[119:120], s[20:21], -v[149:150]
	v_fma_f64 v[147:148], v[42:43], s[16:17], v[147:148]
	v_fma_f64 v[155:156], v[77:78], s[24:25], -v[141:142]
	v_add_f64 v[141:142], v[145:146], v[139:140]
	v_add_f64 v[139:140], v[153:154], v[143:144]
	v_mul_f64 v[121:122], v[121:122], s[22:23]
	v_fma_f64 v[143:144], v[119:120], s[14:15], v[123:124]
	v_fma_f64 v[119:120], v[119:120], s[14:15], -v[123:124]
	v_mul_f64 v[111:112], v[111:112], s[30:31]
	v_add_f64 v[91:92], v[99:100], v[91:92]
	v_add_f64 v[89:90], v[93:94], v[89:90]
	;; [unrolled: 1-line block ×4, first 2 shown]
	v_fma_f64 v[147:148], v[117:118], s[20:21], v[161:162]
	v_fma_f64 v[151:152], v[117:118], s[14:15], -v[121:122]
	v_fma_f64 v[117:118], v[117:118], s[14:15], v[121:122]
	v_add_f64 v[121:122], v[2:3], v[143:144]
	v_add_f64 v[2:3], v[2:3], v[119:120]
	v_fma_f64 v[105:106], v[77:78], s[20:21], -v[111:112]
	v_mul_f64 v[103:104], v[103:104], s[38:39]
	v_add_f64 v[83:84], v[91:92], v[83:84]
	v_add_f64 v[81:82], v[89:90], v[81:82]
	;; [unrolled: 1-line block ×3, first 2 shown]
	v_fma_f64 v[145:146], v[69:70], s[6:7], -v[169:170]
	v_mul_f64 v[97:98], v[97:98], s[28:29]
	v_fma_f64 v[143:144], v[48:49], s[16:17], -v[159:160]
	v_add_f64 v[2:3], v[105:106], v[2:3]
	v_fma_f64 v[93:94], v[69:70], s[26:27], -v[103:104]
	v_add_f64 v[75:76], v[83:84], v[75:76]
	v_add_f64 v[65:66], v[81:82], v[65:66]
	v_mul_f64 v[107:108], v[107:108], s[30:31]
	v_add_f64 v[123:124], v[145:146], v[123:124]
	v_mul_f64 v[85:86], v[85:86], s[18:19]
	;; [unrolled: 2-line block ×3, first 2 shown]
	v_add_f64 v[2:3], v[93:94], v[2:3]
	v_fma_f64 v[93:94], v[48:49], s[24:25], -v[97:98]
	v_add_f64 v[63:64], v[75:76], v[63:64]
	v_add_f64 v[59:60], v[65:66], v[59:60]
	;; [unrolled: 1-line block ×3, first 2 shown]
	v_fma_f64 v[123:124], v[79:80], s[20:21], v[107:108]
	v_add_f64 v[147:148], v[0:1], v[147:148]
	v_fma_f64 v[149:150], v[79:80], s[24:25], v[157:158]
	v_add_f64 v[0:1], v[0:1], v[151:152]
	v_add_f64 v[2:3], v[93:94], v[2:3]
	v_mul_f64 v[75:76], v[87:88], s[18:19]
	v_fma_f64 v[65:66], v[77:78], s[20:21], v[111:112]
	v_fma_f64 v[79:80], v[79:80], s[20:21], -v[107:108]
	v_fma_f64 v[87:88], v[44:45], s[16:17], -v[85:86]
	v_add_f64 v[61:62], v[63:64], v[61:62]
	v_add_f64 v[57:58], v[59:60], v[57:58]
	;; [unrolled: 1-line block ×3, first 2 shown]
	v_fma_f64 v[91:92], v[71:72], s[26:27], v[99:100]
	v_mul_f64 v[95:96], v[95:96], s[28:29]
	v_add_f64 v[145:146], v[149:150], v[147:148]
	v_fma_f64 v[115:116], v[71:72], s[6:7], v[173:174]
	v_fma_f64 v[59:60], v[69:70], s[26:27], v[103:104]
	v_add_f64 v[65:66], v[65:66], v[121:122]
	v_fma_f64 v[69:70], v[71:72], s[26:27], -v[99:100]
	v_add_f64 v[0:1], v[79:80], v[0:1]
	v_add_f64 v[71:72], v[87:88], v[2:3]
	;; [unrolled: 1-line block ×5, first 2 shown]
	v_fma_f64 v[91:92], v[50:51], s[24:25], v[95:96]
	v_add_f64 v[109:110], v[115:116], v[145:146]
	v_fma_f64 v[115:116], v[50:51], s[16:17], v[171:172]
	v_fma_f64 v[34:35], v[48:49], s[24:25], v[97:98]
	v_add_f64 v[48:49], v[59:60], v[65:66]
	v_fma_f64 v[50:51], v[50:51], s[24:25], -v[95:96]
	v_add_f64 v[0:1], v[69:70], v[0:1]
	v_add_f64 v[2:3], v[2:3], v[38:39]
	;; [unrolled: 1-line block ×4, first 2 shown]
	v_fma_f64 v[63:64], v[46:47], s[16:17], v[75:76]
	v_mul_f64 v[57:58], v[67:68], s[8:9]
	v_mul_f64 v[59:60], v[73:74], s[8:9]
	v_fma_f64 v[119:120], v[44:45], s[26:27], -v[163:164]
	v_add_f64 v[101:102], v[115:116], v[109:110]
	v_fma_f64 v[89:90], v[46:47], s[26:27], v[175:176]
	v_fma_f64 v[36:37], v[44:45], s[16:17], v[85:86]
	v_add_f64 v[34:35], v[34:35], v[48:49]
	v_fma_f64 v[38:39], v[46:47], s[16:17], -v[75:76]
	v_add_f64 v[0:1], v[50:51], v[0:1]
	v_add_f64 v[30:31], v[2:3], v[30:31]
	;; [unrolled: 1-line block ×4, first 2 shown]
	v_fma_f64 v[44:45], v[40:41], s[6:7], -v[57:58]
	v_fma_f64 v[46:47], v[42:43], s[6:7], v[59:60]
	v_add_f64 v[81:82], v[119:120], v[117:118]
	v_add_f64 v[89:90], v[89:90], v[101:102]
	v_fma_f64 v[77:78], v[40:41], s[14:15], -v[165:166]
	v_fma_f64 v[91:92], v[42:43], s[14:15], v[167:168]
	v_fma_f64 v[40:41], v[40:41], s[6:7], v[57:58]
	v_add_f64 v[34:35], v[36:37], v[34:35]
	v_fma_f64 v[42:43], v[42:43], s[6:7], -v[59:60]
	v_add_f64 v[38:39], v[38:39], v[0:1]
	v_add_f64 v[32:33], v[30:31], v[26:27]
	;; [unrolled: 1-line block ×7, first 2 shown]
	v_lshrrev_b32_e32 v24, 1, v56
	v_mul_u32_u24_e32 v24, 26, v24
	v_or_b32_e32 v24, v24, v126
	v_lshl_add_u32 v24, v24, 4, 0
	v_add_f64 v[36:37], v[40:41], v[34:35]
	v_add_f64 v[34:35], v[42:43], v[38:39]
	ds_write_b128 v24, v[30:33]
	ds_write_b128 v24, v[26:29] offset:32
	ds_write_b128 v24, v[0:3] offset:64
	;; [unrolled: 1-line block ×12, first 2 shown]
.LBB0_27:
	s_or_b64 exec, exec, s[2:3]
	s_movk_i32 s2, 0x4f
	v_mul_lo_u16_sdwa v0, v56, s2 dst_sel:DWORD dst_unused:UNUSED_PAD src0_sel:BYTE_0 src1_sel:DWORD
	v_lshrrev_b16_e32 v57, 11, v0
	v_mul_lo_u16_e32 v0, 26, v57
	v_sub_u16_e32 v58, v56, v0
	v_mov_b32_e32 v0, 6
	v_mul_u32_u24_sdwa v0, v58, v0 dst_sel:DWORD dst_unused:UNUSED_PAD src0_sel:BYTE_0 src1_sel:DWORD
	v_lshlrev_b32_e32 v24, 4, v0
	s_waitcnt lgkmcnt(0)
	s_barrier
	global_load_dwordx4 v[0:3], v24, s[12:13] offset:384
	global_load_dwordx4 v[4:7], v24, s[12:13] offset:400
	;; [unrolled: 1-line block ×6, first 2 shown]
	ds_read_b128 v[24:27], v125
	ds_read_b128 v[28:31], v125 offset:2912
	ds_read_b128 v[32:35], v125 offset:5824
	;; [unrolled: 1-line block ×6, first 2 shown]
	v_mov_b32_e32 v59, 4
	v_mul_u32_u24_e32 v57, 0xb60, v57
	v_lshlrev_b32_sdwa v58, v59, v58 dst_sel:DWORD dst_unused:UNUSED_PAD src0_sel:DWORD src1_sel:BYTE_0
	v_add3_u32 v69, 0, v57, v58
	s_mov_b32 s6, 0x37e14327
	s_mov_b32 s2, 0x36b3c0b5
	;; [unrolled: 1-line block ×20, first 2 shown]
	s_waitcnt vmcnt(0) lgkmcnt(0)
	s_barrier
	v_mul_f64 v[57:58], v[30:31], v[2:3]
	v_mul_f64 v[2:3], v[28:29], v[2:3]
	;; [unrolled: 1-line block ×12, first 2 shown]
	v_fma_f64 v[28:29], v[28:29], v[0:1], v[57:58]
	v_fma_f64 v[0:1], v[30:31], v[0:1], -v[2:3]
	v_fma_f64 v[2:3], v[32:33], v[4:5], v[59:60]
	v_fma_f64 v[4:5], v[34:35], v[4:5], -v[6:7]
	;; [unrolled: 2-line block ×6, first 2 shown]
	v_add_f64 v[14:15], v[28:29], v[6:7]
	v_add_f64 v[30:31], v[0:1], v[16:17]
	v_add_f64 v[6:7], v[28:29], -v[6:7]
	v_add_f64 v[0:1], v[0:1], -v[16:17]
	v_add_f64 v[16:17], v[2:3], v[10:11]
	v_add_f64 v[28:29], v[4:5], v[20:21]
	v_add_f64 v[2:3], v[2:3], -v[10:11]
	v_add_f64 v[4:5], v[4:5], -v[20:21]
	;; [unrolled: 4-line block ×4, first 2 shown]
	v_add_f64 v[14:15], v[14:15], -v[10:11]
	v_add_f64 v[30:31], v[30:31], -v[20:21]
	v_add_f64 v[16:17], v[10:11], -v[16:17]
	v_add_f64 v[38:39], v[8:9], v[4:5]
	v_add_f64 v[40:41], v[18:19], -v[2:3]
	v_add_f64 v[42:43], v[8:9], -v[4:5]
	v_add_f64 v[10:11], v[10:11], v[12:13]
	v_add_f64 v[12:13], v[20:21], v[22:23]
	v_add_f64 v[44:45], v[2:3], -v[6:7]
	v_add_f64 v[4:5], v[4:5], -v[0:1]
	;; [unrolled: 1-line block ×3, first 2 shown]
	v_add_f64 v[36:37], v[18:19], v[2:3]
	v_add_f64 v[18:19], v[6:7], -v[18:19]
	v_add_f64 v[8:9], v[0:1], -v[8:9]
	v_add_f64 v[20:21], v[38:39], v[0:1]
	v_mul_f64 v[14:15], v[14:15], s[6:7]
	v_mul_f64 v[22:23], v[30:31], s[6:7]
	;; [unrolled: 1-line block ×5, first 2 shown]
	v_add_f64 v[0:1], v[24:25], v[10:11]
	v_add_f64 v[2:3], v[26:27], v[12:13]
	v_mul_f64 v[42:43], v[44:45], s[8:9]
	v_mul_f64 v[46:47], v[4:5], s[8:9]
	v_add_f64 v[6:7], v[36:37], v[6:7]
	v_mul_f64 v[36:37], v[28:29], s[2:3]
	v_fma_f64 v[16:17], v[16:17], s[2:3], v[14:15]
	v_fma_f64 v[24:25], v[28:29], s[2:3], v[22:23]
	v_fma_f64 v[26:27], v[32:33], s[18:19], -v[30:31]
	v_fma_f64 v[14:15], v[32:33], s[20:21], -v[14:15]
	v_fma_f64 v[30:31], v[18:19], s[22:23], v[38:39]
	v_fma_f64 v[32:33], v[8:9], s[22:23], v[40:41]
	;; [unrolled: 1-line block ×4, first 2 shown]
	v_fma_f64 v[22:23], v[34:35], s[20:21], -v[22:23]
	v_fma_f64 v[4:5], v[4:5], s[8:9], -v[40:41]
	v_fma_f64 v[18:19], v[18:19], s[26:27], -v[42:43]
	v_fma_f64 v[8:9], v[8:9], s[26:27], -v[46:47]
	v_fma_f64 v[28:29], v[34:35], s[18:19], -v[36:37]
	v_fma_f64 v[34:35], v[44:45], s[8:9], -v[38:39]
	v_fma_f64 v[30:31], v[6:7], s[24:25], v[30:31]
	v_fma_f64 v[32:33], v[20:21], s[24:25], v[32:33]
	v_add_f64 v[40:41], v[16:17], v[10:11]
	v_add_f64 v[42:43], v[24:25], v[12:13]
	v_fma_f64 v[36:37], v[20:21], s[24:25], v[4:5]
	v_fma_f64 v[38:39], v[6:7], s[24:25], v[18:19]
	;; [unrolled: 1-line block ×3, first 2 shown]
	v_add_f64 v[24:25], v[14:15], v[10:11]
	v_add_f64 v[22:23], v[22:23], v[12:13]
	v_fma_f64 v[34:35], v[6:7], s[24:25], v[34:35]
	v_add_f64 v[16:17], v[26:27], v[10:11]
	v_add_f64 v[18:19], v[28:29], v[12:13]
	;; [unrolled: 1-line block ×3, first 2 shown]
	v_add_f64 v[6:7], v[42:43], -v[30:31]
	v_add_f64 v[26:27], v[30:31], v[42:43]
	v_add_f64 v[8:9], v[20:21], v[24:25]
	v_add_f64 v[10:11], v[22:23], -v[38:39]
	v_add_f64 v[20:21], v[24:25], -v[20:21]
	;; [unrolled: 1-line block ×3, first 2 shown]
	v_add_f64 v[14:15], v[34:35], v[18:19]
	v_add_f64 v[16:17], v[36:37], v[16:17]
	v_add_f64 v[18:19], v[18:19], -v[34:35]
	v_add_f64 v[22:23], v[38:39], v[22:23]
	v_add_f64 v[24:25], v[40:41], -v[32:33]
	ds_write_b128 v69, v[0:3]
	ds_write_b128 v69, v[4:7] offset:416
	ds_write_b128 v69, v[8:11] offset:832
	;; [unrolled: 1-line block ×6, first 2 shown]
	v_mul_u32_u24_e32 v0, 6, v56
	v_lshlrev_b32_e32 v24, 4, v0
	s_waitcnt lgkmcnt(0)
	s_barrier
	global_load_dwordx4 v[0:3], v24, s[12:13] offset:2880
	global_load_dwordx4 v[4:7], v24, s[12:13] offset:2896
	;; [unrolled: 1-line block ×6, first 2 shown]
	ds_read_b128 v[24:27], v125
	ds_read_b128 v[28:31], v125 offset:2912
	ds_read_b128 v[32:35], v125 offset:5824
	ds_read_b128 v[36:39], v125 offset:8736
	ds_read_b128 v[40:43], v125 offset:11648
	ds_read_b128 v[44:47], v125 offset:14560
	ds_read_b128 v[48:51], v125 offset:17472
	s_waitcnt vmcnt(0) lgkmcnt(0)
	s_barrier
	v_mul_f64 v[57:58], v[30:31], v[2:3]
	v_mul_f64 v[2:3], v[28:29], v[2:3]
	;; [unrolled: 1-line block ×12, first 2 shown]
	v_fma_f64 v[28:29], v[28:29], v[0:1], v[57:58]
	v_fma_f64 v[0:1], v[30:31], v[0:1], -v[2:3]
	v_fma_f64 v[2:3], v[32:33], v[4:5], v[59:60]
	v_fma_f64 v[4:5], v[34:35], v[4:5], -v[6:7]
	;; [unrolled: 2-line block ×6, first 2 shown]
	v_add_f64 v[14:15], v[28:29], v[6:7]
	v_add_f64 v[30:31], v[0:1], v[16:17]
	v_add_f64 v[6:7], v[28:29], -v[6:7]
	v_add_f64 v[0:1], v[0:1], -v[16:17]
	v_add_f64 v[16:17], v[2:3], v[10:11]
	v_add_f64 v[28:29], v[4:5], v[20:21]
	v_add_f64 v[2:3], v[2:3], -v[10:11]
	v_add_f64 v[4:5], v[4:5], -v[20:21]
	;; [unrolled: 4-line block ×4, first 2 shown]
	v_add_f64 v[14:15], v[14:15], -v[10:11]
	v_add_f64 v[30:31], v[30:31], -v[20:21]
	;; [unrolled: 1-line block ×3, first 2 shown]
	v_add_f64 v[38:39], v[8:9], v[4:5]
	v_add_f64 v[40:41], v[18:19], -v[2:3]
	v_add_f64 v[42:43], v[8:9], -v[4:5]
	v_add_f64 v[10:11], v[10:11], v[12:13]
	v_add_f64 v[12:13], v[20:21], v[22:23]
	v_add_f64 v[44:45], v[2:3], -v[6:7]
	v_add_f64 v[4:5], v[4:5], -v[0:1]
	;; [unrolled: 1-line block ×3, first 2 shown]
	v_add_f64 v[36:37], v[18:19], v[2:3]
	v_add_f64 v[18:19], v[6:7], -v[18:19]
	v_add_f64 v[8:9], v[0:1], -v[8:9]
	v_add_f64 v[20:21], v[38:39], v[0:1]
	v_mul_f64 v[14:15], v[14:15], s[6:7]
	v_mul_f64 v[22:23], v[30:31], s[6:7]
	;; [unrolled: 1-line block ×5, first 2 shown]
	v_add_f64 v[0:1], v[24:25], v[10:11]
	v_add_f64 v[2:3], v[26:27], v[12:13]
	v_mul_f64 v[42:43], v[44:45], s[8:9]
	v_mul_f64 v[46:47], v[4:5], s[8:9]
	v_add_f64 v[6:7], v[36:37], v[6:7]
	v_mul_f64 v[36:37], v[28:29], s[2:3]
	v_fma_f64 v[16:17], v[16:17], s[2:3], v[14:15]
	v_fma_f64 v[24:25], v[28:29], s[2:3], v[22:23]
	v_fma_f64 v[26:27], v[32:33], s[18:19], -v[30:31]
	v_fma_f64 v[14:15], v[32:33], s[20:21], -v[14:15]
	v_fma_f64 v[30:31], v[18:19], s[22:23], v[38:39]
	v_fma_f64 v[32:33], v[8:9], s[22:23], v[40:41]
	;; [unrolled: 1-line block ×4, first 2 shown]
	v_fma_f64 v[22:23], v[34:35], s[20:21], -v[22:23]
	v_fma_f64 v[4:5], v[4:5], s[8:9], -v[40:41]
	;; [unrolled: 1-line block ×6, first 2 shown]
	v_fma_f64 v[30:31], v[6:7], s[24:25], v[30:31]
	v_fma_f64 v[32:33], v[20:21], s[24:25], v[32:33]
	v_add_f64 v[40:41], v[16:17], v[10:11]
	v_add_f64 v[42:43], v[24:25], v[12:13]
	v_fma_f64 v[36:37], v[20:21], s[24:25], v[4:5]
	v_fma_f64 v[38:39], v[6:7], s[24:25], v[18:19]
	;; [unrolled: 1-line block ×3, first 2 shown]
	v_add_f64 v[24:25], v[14:15], v[10:11]
	v_add_f64 v[22:23], v[22:23], v[12:13]
	v_fma_f64 v[34:35], v[6:7], s[24:25], v[34:35]
	v_add_f64 v[16:17], v[26:27], v[10:11]
	v_add_f64 v[18:19], v[28:29], v[12:13]
	;; [unrolled: 1-line block ×3, first 2 shown]
	v_add_f64 v[6:7], v[42:43], -v[30:31]
	v_add_f64 v[26:27], v[30:31], v[42:43]
	v_add_f64 v[8:9], v[20:21], v[24:25]
	v_add_f64 v[10:11], v[22:23], -v[38:39]
	v_add_f64 v[20:21], v[24:25], -v[20:21]
	;; [unrolled: 1-line block ×3, first 2 shown]
	v_add_f64 v[14:15], v[34:35], v[18:19]
	v_add_f64 v[16:17], v[36:37], v[16:17]
	v_add_f64 v[18:19], v[18:19], -v[34:35]
	v_add_f64 v[22:23], v[38:39], v[22:23]
	v_add_f64 v[24:25], v[40:41], -v[32:33]
	ds_write_b128 v125, v[0:3]
	ds_write_b128 v125, v[4:7] offset:2912
	ds_write_b128 v125, v[8:11] offset:5824
	;; [unrolled: 1-line block ×6, first 2 shown]
	s_waitcnt lgkmcnt(0)
	s_barrier
	s_and_saveexec_b64 s[2:3], s[0:1]
	s_cbranch_execz .LBB0_29
; %bb.28:
	v_mul_lo_u32 v0, s5, v54
	v_mul_lo_u32 v1, s4, v55
	v_mad_u64_u32 v[4:5], s[0:1], s4, v54, 0
	v_mov_b32_e32 v6, s11
	v_lshl_add_u32 v10, v56, 4, 0
	v_add3_u32 v5, v5, v1, v0
	v_lshlrev_b64 v[4:5], 4, v[4:5]
	v_mov_b32_e32 v57, 0
	v_add_co_u32_e32 v7, vcc, s10, v4
	v_addc_co_u32_e32 v6, vcc, v6, v5, vcc
	v_lshlrev_b64 v[4:5], 4, v[52:53]
	ds_read_b128 v[0:3], v10
	v_add_co_u32_e32 v11, vcc, v7, v4
	v_addc_co_u32_e32 v12, vcc, v6, v5, vcc
	v_lshlrev_b64 v[4:5], 4, v[56:57]
	v_add_co_u32_e32 v8, vcc, v11, v4
	v_addc_co_u32_e32 v9, vcc, v12, v5, vcc
	ds_read_b128 v[4:7], v10 offset:2912
	s_waitcnt lgkmcnt(1)
	global_store_dwordx4 v[8:9], v[0:3], off
	s_nop 0
	v_add_u32_e32 v0, 0xb6, v56
	v_mov_b32_e32 v1, v57
	v_lshlrev_b64 v[0:1], 4, v[0:1]
	v_add_co_u32_e32 v0, vcc, v11, v0
	v_addc_co_u32_e32 v1, vcc, v12, v1, vcc
	s_waitcnt lgkmcnt(0)
	global_store_dwordx4 v[0:1], v[4:7], off
	ds_read_b128 v[0:3], v10 offset:5824
	v_add_u32_e32 v4, 0x16c, v56
	v_mov_b32_e32 v5, v57
	v_lshlrev_b64 v[4:5], 4, v[4:5]
	v_add_co_u32_e32 v8, vcc, v11, v4
	v_addc_co_u32_e32 v9, vcc, v12, v5, vcc
	ds_read_b128 v[4:7], v10 offset:8736
	s_waitcnt lgkmcnt(1)
	global_store_dwordx4 v[8:9], v[0:3], off
	s_nop 0
	v_add_u32_e32 v0, 0x222, v56
	v_mov_b32_e32 v1, v57
	v_lshlrev_b64 v[0:1], 4, v[0:1]
	v_add_co_u32_e32 v0, vcc, v11, v0
	v_addc_co_u32_e32 v1, vcc, v12, v1, vcc
	s_waitcnt lgkmcnt(0)
	global_store_dwordx4 v[0:1], v[4:7], off
	ds_read_b128 v[0:3], v10 offset:11648
	v_add_u32_e32 v4, 0x2d8, v56
	v_mov_b32_e32 v5, v57
	v_lshlrev_b64 v[4:5], 4, v[4:5]
	v_add_co_u32_e32 v8, vcc, v11, v4
	v_addc_co_u32_e32 v9, vcc, v12, v5, vcc
	ds_read_b128 v[4:7], v10 offset:14560
	s_waitcnt lgkmcnt(1)
	global_store_dwordx4 v[8:9], v[0:3], off
	s_nop 0
	v_add_u32_e32 v0, 0x38e, v56
	v_mov_b32_e32 v1, v57
	v_lshlrev_b64 v[0:1], 4, v[0:1]
	v_add_u32_e32 v56, 0x444, v56
	v_add_co_u32_e32 v0, vcc, v11, v0
	v_addc_co_u32_e32 v1, vcc, v12, v1, vcc
	s_waitcnt lgkmcnt(0)
	global_store_dwordx4 v[0:1], v[4:7], off
	ds_read_b128 v[0:3], v10 offset:17472
	v_lshlrev_b64 v[4:5], 4, v[56:57]
	v_add_co_u32_e32 v4, vcc, v11, v4
	v_addc_co_u32_e32 v5, vcc, v12, v5, vcc
	s_waitcnt lgkmcnt(0)
	global_store_dwordx4 v[4:5], v[0:3], off
.LBB0_29:
	s_endpgm
	.section	.rodata,"a",@progbits
	.p2align	6, 0x0
	.amdhsa_kernel fft_rtc_back_len1274_factors_2_13_7_7_wgs_182_tpt_182_halfLds_dp_op_CI_CI_unitstride_sbrr_C2R_dirReg
		.amdhsa_group_segment_fixed_size 0
		.amdhsa_private_segment_fixed_size 0
		.amdhsa_kernarg_size 104
		.amdhsa_user_sgpr_count 6
		.amdhsa_user_sgpr_private_segment_buffer 1
		.amdhsa_user_sgpr_dispatch_ptr 0
		.amdhsa_user_sgpr_queue_ptr 0
		.amdhsa_user_sgpr_kernarg_segment_ptr 1
		.amdhsa_user_sgpr_dispatch_id 0
		.amdhsa_user_sgpr_flat_scratch_init 0
		.amdhsa_user_sgpr_private_segment_size 0
		.amdhsa_uses_dynamic_stack 0
		.amdhsa_system_sgpr_private_segment_wavefront_offset 0
		.amdhsa_system_sgpr_workgroup_id_x 1
		.amdhsa_system_sgpr_workgroup_id_y 0
		.amdhsa_system_sgpr_workgroup_id_z 0
		.amdhsa_system_sgpr_workgroup_info 0
		.amdhsa_system_vgpr_workitem_id 0
		.amdhsa_next_free_vgpr 177
		.amdhsa_next_free_sgpr 44
		.amdhsa_reserve_vcc 1
		.amdhsa_reserve_flat_scratch 0
		.amdhsa_float_round_mode_32 0
		.amdhsa_float_round_mode_16_64 0
		.amdhsa_float_denorm_mode_32 3
		.amdhsa_float_denorm_mode_16_64 3
		.amdhsa_dx10_clamp 1
		.amdhsa_ieee_mode 1
		.amdhsa_fp16_overflow 0
		.amdhsa_exception_fp_ieee_invalid_op 0
		.amdhsa_exception_fp_denorm_src 0
		.amdhsa_exception_fp_ieee_div_zero 0
		.amdhsa_exception_fp_ieee_overflow 0
		.amdhsa_exception_fp_ieee_underflow 0
		.amdhsa_exception_fp_ieee_inexact 0
		.amdhsa_exception_int_div_zero 0
	.end_amdhsa_kernel
	.text
.Lfunc_end0:
	.size	fft_rtc_back_len1274_factors_2_13_7_7_wgs_182_tpt_182_halfLds_dp_op_CI_CI_unitstride_sbrr_C2R_dirReg, .Lfunc_end0-fft_rtc_back_len1274_factors_2_13_7_7_wgs_182_tpt_182_halfLds_dp_op_CI_CI_unitstride_sbrr_C2R_dirReg
                                        ; -- End function
	.section	.AMDGPU.csdata,"",@progbits
; Kernel info:
; codeLenInByte = 9708
; NumSgprs: 48
; NumVgprs: 177
; ScratchSize: 0
; MemoryBound: 0
; FloatMode: 240
; IeeeMode: 1
; LDSByteSize: 0 bytes/workgroup (compile time only)
; SGPRBlocks: 5
; VGPRBlocks: 44
; NumSGPRsForWavesPerEU: 48
; NumVGPRsForWavesPerEU: 177
; Occupancy: 1
; WaveLimiterHint : 1
; COMPUTE_PGM_RSRC2:SCRATCH_EN: 0
; COMPUTE_PGM_RSRC2:USER_SGPR: 6
; COMPUTE_PGM_RSRC2:TRAP_HANDLER: 0
; COMPUTE_PGM_RSRC2:TGID_X_EN: 1
; COMPUTE_PGM_RSRC2:TGID_Y_EN: 0
; COMPUTE_PGM_RSRC2:TGID_Z_EN: 0
; COMPUTE_PGM_RSRC2:TIDIG_COMP_CNT: 0
	.type	__hip_cuid_e32b5f84831e5279,@object ; @__hip_cuid_e32b5f84831e5279
	.section	.bss,"aw",@nobits
	.globl	__hip_cuid_e32b5f84831e5279
__hip_cuid_e32b5f84831e5279:
	.byte	0                               ; 0x0
	.size	__hip_cuid_e32b5f84831e5279, 1

	.ident	"AMD clang version 19.0.0git (https://github.com/RadeonOpenCompute/llvm-project roc-6.4.0 25133 c7fe45cf4b819c5991fe208aaa96edf142730f1d)"
	.section	".note.GNU-stack","",@progbits
	.addrsig
	.addrsig_sym __hip_cuid_e32b5f84831e5279
	.amdgpu_metadata
---
amdhsa.kernels:
  - .args:
      - .actual_access:  read_only
        .address_space:  global
        .offset:         0
        .size:           8
        .value_kind:     global_buffer
      - .offset:         8
        .size:           8
        .value_kind:     by_value
      - .actual_access:  read_only
        .address_space:  global
        .offset:         16
        .size:           8
        .value_kind:     global_buffer
      - .actual_access:  read_only
        .address_space:  global
        .offset:         24
        .size:           8
        .value_kind:     global_buffer
      - .actual_access:  read_only
        .address_space:  global
        .offset:         32
        .size:           8
        .value_kind:     global_buffer
      - .offset:         40
        .size:           8
        .value_kind:     by_value
      - .actual_access:  read_only
        .address_space:  global
        .offset:         48
        .size:           8
        .value_kind:     global_buffer
      - .actual_access:  read_only
        .address_space:  global
        .offset:         56
        .size:           8
        .value_kind:     global_buffer
      - .offset:         64
        .size:           4
        .value_kind:     by_value
      - .actual_access:  read_only
        .address_space:  global
        .offset:         72
        .size:           8
        .value_kind:     global_buffer
      - .actual_access:  read_only
        .address_space:  global
        .offset:         80
        .size:           8
        .value_kind:     global_buffer
      - .actual_access:  read_only
        .address_space:  global
        .offset:         88
        .size:           8
        .value_kind:     global_buffer
      - .actual_access:  write_only
        .address_space:  global
        .offset:         96
        .size:           8
        .value_kind:     global_buffer
    .group_segment_fixed_size: 0
    .kernarg_segment_align: 8
    .kernarg_segment_size: 104
    .language:       OpenCL C
    .language_version:
      - 2
      - 0
    .max_flat_workgroup_size: 182
    .name:           fft_rtc_back_len1274_factors_2_13_7_7_wgs_182_tpt_182_halfLds_dp_op_CI_CI_unitstride_sbrr_C2R_dirReg
    .private_segment_fixed_size: 0
    .sgpr_count:     48
    .sgpr_spill_count: 0
    .symbol:         fft_rtc_back_len1274_factors_2_13_7_7_wgs_182_tpt_182_halfLds_dp_op_CI_CI_unitstride_sbrr_C2R_dirReg.kd
    .uniform_work_group_size: 1
    .uses_dynamic_stack: false
    .vgpr_count:     177
    .vgpr_spill_count: 0
    .wavefront_size: 64
amdhsa.target:   amdgcn-amd-amdhsa--gfx906
amdhsa.version:
  - 1
  - 2
...

	.end_amdgpu_metadata
